;; amdgpu-corpus repo=ROCm/rocFFT kind=compiled arch=gfx950 opt=O3
	.text
	.amdgcn_target "amdgcn-amd-amdhsa--gfx950"
	.amdhsa_code_object_version 6
	.protected	bluestein_single_fwd_len78_dim1_sp_op_CI_CI ; -- Begin function bluestein_single_fwd_len78_dim1_sp_op_CI_CI
	.globl	bluestein_single_fwd_len78_dim1_sp_op_CI_CI
	.p2align	8
	.type	bluestein_single_fwd_len78_dim1_sp_op_CI_CI,@function
bluestein_single_fwd_len78_dim1_sp_op_CI_CI: ; @bluestein_single_fwd_len78_dim1_sp_op_CI_CI
; %bb.0:
	s_load_dwordx4 s[16:19], s[0:1], 0x28
	v_mul_u32_u24_e32 v1, 0x13b2, v0
	v_lshrrev_b32_e32 v2, 16, v1
	v_mad_u64_u32 v[48:49], s[2:3], s2, 19, v[2:3]
	v_mov_b32_e32 v63, 0
	v_mov_b32_e32 v49, v63
	s_waitcnt lgkmcnt(0)
	v_cmp_gt_u64_e32 vcc, s[16:17], v[48:49]
	s_and_saveexec_b64 s[2:3], vcc
	s_cbranch_execz .LBB0_12
; %bb.1:
	s_load_dwordx4 s[4:7], s[0:1], 0x18
	s_load_dwordx4 s[8:11], s[0:1], 0x0
	v_mul_lo_u16_e32 v1, 13, v2
	v_sub_u16_e32 v49, v0, v1
	v_mov_b32_e32 v4, s18
	s_waitcnt lgkmcnt(0)
	s_load_dwordx4 s[12:15], s[4:5], 0x0
	v_mov_b32_e32 v5, s19
	v_mov_b32_e32 v12, 0x68
	v_lshlrev_b32_e32 v62, 3, v49
	v_cmp_gt_u16_e32 vcc, 6, v49
	s_waitcnt lgkmcnt(0)
	v_mad_u64_u32 v[0:1], s[2:3], s14, v48, 0
	v_mov_b32_e32 v2, v1
	v_mad_u64_u32 v[2:3], s[2:3], s15, v48, v[2:3]
	v_mov_b32_e32 v1, v2
	;; [unrolled: 2-line block ×4, first 2 shown]
	v_lshl_add_u64 v[0:1], v[0:1], 3, v[4:5]
	v_lshl_add_u64 v[0:1], v[2:3], 3, v[0:1]
	global_load_dwordx2 v[2:3], v[0:1], off
	v_mad_u64_u32 v[0:1], s[2:3], s12, v12, v[0:1]
	s_mul_i32 s4, s13, 0x68
	v_add_u32_e32 v1, s4, v1
	v_mad_u64_u32 v[4:5], s[2:3], s12, v12, v[0:1]
	v_add_u32_e32 v5, s4, v5
	global_load_dwordx2 v[60:61], v62, s[8:9]
	global_load_dwordx2 v[58:59], v62, s[8:9] offset:104
	global_load_dwordx2 v[6:7], v[4:5], off
	v_mad_u64_u32 v[4:5], s[2:3], s12, v12, v[4:5]
	global_load_dwordx2 v[0:1], v[0:1], off
	v_add_u32_e32 v5, s4, v5
	global_load_dwordx2 v[56:57], v62, s[8:9] offset:208
	global_load_dwordx2 v[54:55], v62, s[8:9] offset:312
	global_load_dwordx2 v[8:9], v[4:5], off
	v_mad_u64_u32 v[4:5], s[2:3], s12, v12, v[4:5]
	v_add_u32_e32 v5, s4, v5
	global_load_dwordx2 v[10:11], v[4:5], off
	global_load_dwordx2 v[52:53], v62, s[8:9] offset:416
	v_mad_u64_u32 v[4:5], s[2:3], s12, v12, v[4:5]
	v_add_u32_e32 v5, s4, v5
	global_load_dwordx2 v[50:51], v62, s[8:9] offset:520
	global_load_dwordx2 v[12:13], v[4:5], off
	s_mov_b32 s2, 0xaf286bcb
	v_mul_hi_u32 v4, v48, s2
	v_sub_u32_e32 v5, v48, v4
	v_lshrrev_b32_e32 v5, 1, v5
	v_add_u32_e32 v4, v5, v4
	v_lshrrev_b32_e32 v4, 4, v4
	v_mul_lo_u32 v4, v4, 19
	v_sub_u32_e32 v4, v48, v4
	v_mul_u32_u24_e32 v4, 0x4e, v4
	v_lshlrev_b32_e32 v205, 3, v4
	v_add_u32_e32 v204, v62, v205
	s_load_dwordx4 s[4:7], s[6:7], 0x0
                                        ; implicit-def: $vgpr68
	s_waitcnt vmcnt(10)
	v_mul_f32_e32 v4, v3, v61
	v_mul_f32_e32 v5, v2, v61
	v_fmac_f32_e32 v4, v2, v60
	v_fma_f32 v5, v3, v60, -v5
	s_load_dwordx2 s[2:3], s[0:1], 0x38
	s_waitcnt vmcnt(7)
	v_mul_f32_e32 v2, v1, v59
	v_mul_f32_e32 v3, v0, v59
	v_fmac_f32_e32 v2, v0, v58
	v_fma_f32 v3, v1, v58, -v3
	ds_write2_b64 v204, v[4:5], v[2:3] offset1:13
	s_waitcnt vmcnt(6)
	v_mul_f32_e32 v0, v7, v57
	v_mul_f32_e32 v1, v6, v57
	s_waitcnt vmcnt(4)
	v_mul_f32_e32 v2, v9, v55
	v_mul_f32_e32 v3, v8, v55
	v_fmac_f32_e32 v0, v6, v56
	v_fma_f32 v1, v7, v56, -v1
	v_fmac_f32_e32 v2, v8, v54
	v_fma_f32 v3, v9, v54, -v3
	ds_write2_b64 v204, v[0:1], v[2:3] offset0:26 offset1:39
	s_waitcnt vmcnt(2)
	v_mul_f32_e32 v0, v11, v53
	v_mul_f32_e32 v1, v10, v53
	s_waitcnt vmcnt(0)
	v_mul_f32_e32 v2, v13, v51
	v_mul_f32_e32 v3, v12, v51
	v_fmac_f32_e32 v0, v10, v52
	v_fma_f32 v1, v11, v52, -v1
	v_fmac_f32_e32 v2, v12, v50
	v_fma_f32 v3, v13, v50, -v3
	ds_write2_b64 v204, v[0:1], v[2:3] offset0:52 offset1:65
	s_waitcnt lgkmcnt(0)
	s_barrier
	ds_read2_b64 v[0:3], v204 offset1:13
	ds_read2_b64 v[4:7], v204 offset0:26 offset1:39
	ds_read2_b64 v[8:11], v204 offset0:52 offset1:65
	s_mov_b32 s0, 0x3f5db3d7
	s_mov_b32 s1, 0xbf5db3d7
	s_waitcnt lgkmcnt(0)
	v_pk_add_f32 v[12:13], v[0:1], v[4:5]
	v_pk_add_f32 v[18:19], v[6:7], v[10:11]
	;; [unrolled: 1-line block ×4, first 2 shown]
	v_pk_add_f32 v[4:5], v[4:5], v[8:9] neg_lo:[0,1] neg_hi:[0,1]
	v_pk_add_f32 v[6:7], v[6:7], v[10:11] neg_lo:[0,1] neg_hi:[0,1]
	v_pk_fma_f32 v[2:3], v[18:19], 0.5, v[2:3] op_sel_hi:[1,0,1] neg_lo:[1,0,0] neg_hi:[1,0,0]
	v_pk_fma_f32 v[0:1], v[16:17], 0.5, v[0:1] op_sel_hi:[1,0,1] neg_lo:[1,0,0] neg_hi:[1,0,0]
	v_pk_mul_f32 v[4:5], v[4:5], s[0:1] op_sel_hi:[1,0]
	v_pk_fma_f32 v[18:19], v[6:7], s[0:1], v[2:3] op_sel:[0,0,1] op_sel_hi:[1,0,0]
	v_pk_fma_f32 v[2:3], v[6:7], s[0:1], v[2:3] op_sel:[0,0,1] op_sel_hi:[1,0,0] neg_lo:[1,0,0] neg_hi:[1,0,0]
	v_pk_add_f32 v[8:9], v[12:13], v[8:9]
	v_pk_add_f32 v[10:11], v[14:15], v[10:11]
	v_mov_b32_e32 v12, v5
	v_pk_add_f32 v[14:15], v[0:1], v[4:5] op_sel:[0,1] op_sel_hi:[1,0] neg_lo:[0,1] neg_hi:[0,1]
	v_pk_add_f32 v[16:17], v[0:1], v[4:5] op_sel:[0,1] op_sel_hi:[1,0]
	v_mov_b32_e32 v6, v18
	v_mov_b32_e32 v7, v3
	v_mul_f32_e32 v13, 0x3f5db3d7, v2
	v_mul_f32_e32 v5, 0x3f5db3d7, v19
	v_mul_f32_e32 v3, 0.5, v2
	v_mov_b32_e32 v2, v1
	v_mov_b32_e32 v16, v0
	v_pk_add_f32 v[0:1], v[2:3], v[4:5] neg_lo:[0,1] neg_hi:[0,1]
	v_pk_mul_f32 v[2:3], v[6:7], 0.5 op_sel_hi:[1,0]
	v_mov_b32_e32 v15, v17
	v_mul_f32_e32 v17, 0.5, v19
	v_pk_fma_f32 v[2:3], v[6:7], s[0:1], v[2:3] op_sel:[0,0,1] op_sel_hi:[1,1,0] neg_lo:[0,0,1] neg_hi:[0,0,1]
	v_pk_add_f32 v[12:13], v[16:17], v[12:13]
	v_pk_add_f32 v[28:29], v[14:15], v[2:3]
	v_mov_b32_e32 v4, v0
	v_mov_b32_e32 v5, v8
	;; [unrolled: 1-line block ×4, first 2 shown]
	v_pk_add_f32 v[34:35], v[14:15], v[2:3] neg_lo:[0,1] neg_hi:[0,1]
	v_mul_lo_u16_e32 v2, 6, v49
	v_pk_add_f32 v[66:67], v[4:5], v[6:7] neg_lo:[0,1] neg_hi:[0,1]
	v_lshl_add_u32 v206, v2, 3, v205
	v_mov_b32_e32 v2, v12
	v_mov_b32_e32 v3, v0
	v_mov_b32_e32 v0, v13
	v_pk_add_f32 v[26:27], v[2:3], v[0:1]
	v_mov_b32_e32 v30, v67
	v_mov_b32_e32 v0, v9
	;; [unrolled: 1-line block ×4, first 2 shown]
	v_pk_add_f32 v[24:25], v[8:9], v[10:11]
	s_barrier
	ds_write_b96 v206, v[28:30] offset:16
	v_pk_add_f32 v[30:31], v[0:1], v[12:13] neg_lo:[0,1] neg_hi:[0,1]
	v_cmp_lt_u16_e64 s[0:1], 5, v49
	ds_write_b128 v206, v[24:27]
	ds_write2_b32 v206, v30, v31 offset0:7 offset1:8
	ds_write2_b32 v206, v66, v34 offset0:9 offset1:10
	ds_write_b32 v206, v35 offset:44
	s_waitcnt lgkmcnt(0)
	s_barrier
	s_and_saveexec_b64 s[12:13], s[0:1]
	s_xor_b64 s[0:1], exec, s[12:13]
; %bb.2:
	v_mov_b32_e32 v68, v27
	v_mov_b32_e32 v32, v31
; %bb.3:
	s_or_saveexec_b64 s[0:1], s[0:1]
                                        ; implicit-def: $vgpr38
                                        ; implicit-def: $vgpr64
                                        ; implicit-def: $vgpr40
                                        ; implicit-def: $vgpr72
                                        ; implicit-def: $vgpr74
                                        ; implicit-def: $vgpr44
                                        ; implicit-def: $vgpr76
                                        ; implicit-def: $vgpr78
                                        ; implicit-def: $vgpr70
                                        ; implicit-def: $vgpr80
                                        ; implicit-def: $vgpr82
	s_xor_b64 exec, exec, s[0:1]
	s_cbranch_execz .LBB0_5
; %bb.4:
	ds_read2_b64 v[24:27], v204 offset1:6
	ds_read2_b64 v[28:31], v204 offset0:12 offset1:18
	ds_read2_b64 v[32:35], v204 offset0:24 offset1:30
	;; [unrolled: 1-line block ×5, first 2 shown]
	ds_read_b64 v[70:71], v204 offset:576
	s_waitcnt lgkmcnt(4)
	v_mov_b32_e32 v66, v33
	v_mov_b32_e32 v67, v30
	;; [unrolled: 1-line block ×4, first 2 shown]
	s_waitcnt lgkmcnt(3)
	v_mov_b32_e32 v64, v39
	s_waitcnt lgkmcnt(2)
	v_mov_b32_e32 v72, v41
	v_mov_b32_e32 v74, v43
	s_waitcnt lgkmcnt(1)
	v_mov_b32_e32 v76, v45
	;; [unrolled: 3-line block ×3, first 2 shown]
	v_mov_b32_e32 v82, v37
.LBB0_5:
	s_or_b64 exec, exec, s[0:1]
	s_movk_i32 s0, 0xab
	v_mul_lo_u16_sdwa v0, v49, s0 dst_sel:DWORD dst_unused:UNUSED_PAD src0_sel:BYTE_0 src1_sel:DWORD
	v_lshrrev_b16_e32 v0, 10, v0
	v_mul_lo_u16_e32 v0, 6, v0
	v_sub_u16_e32 v0, v49, v0
	v_mul_lo_u16_e32 v0, 12, v0
	v_and_b32_e32 v0, 0xfc, v0
	v_lshlrev_b32_e32 v27, 3, v0
	global_load_dwordx4 v[0:3], v27, s[10:11] offset:16
	global_load_dwordx4 v[4:7], v27, s[10:11] offset:32
	;; [unrolled: 1-line block ×5, first 2 shown]
	global_load_dwordx4 v[20:23], v27, s[10:11]
	s_mov_b32 s14, 0xbf52af12
	s_mov_b32 s10, 0x3f116cb1
	;; [unrolled: 1-line block ×14, first 2 shown]
	s_waitcnt vmcnt(5)
	v_pk_mul_f32 v[84:85], v[66:67], v[2:3] op_sel_hi:[0,1]
	s_waitcnt vmcnt(4)
	v_pk_mul_f32 v[86:87], v[34:35], v[4:5] op_sel:[1,0]
	v_pk_mul_f32 v[82:83], v[82:83], v[6:7] op_sel_hi:[0,1]
	s_waitcnt vmcnt(3)
	v_pk_mul_f32 v[88:89], v[64:65], v[8:9] op_sel_hi:[0,1]
	v_pk_mul_f32 v[90:91], v[72:73], v[10:11] op_sel_hi:[0,1]
	s_waitcnt vmcnt(2)
	v_pk_mul_f32 v[92:93], v[74:75], v[12:13] op_sel_hi:[0,1]
	;; [unrolled: 3-line block ×3, first 2 shown]
	s_waitcnt vmcnt(0)
	v_mov_b32_e32 v64, v23
	v_mov_b32_e32 v65, v22
	v_pk_mul_f32 v[30:31], v[30:31], v[0:1] op_sel:[0,1] op_sel_hi:[0,0]
	v_pk_mul_f32 v[80:81], v[80:81], v[18:19] op_sel_hi:[0,1]
	v_pk_mul_f32 v[98:99], v[68:69], v[20:21] op_sel_hi:[0,1]
	v_pk_fma_f32 v[68:69], v[32:33], v[2:3], v[84:85] op_sel:[0,0,1] op_sel_hi:[1,1,0] neg_lo:[0,0,1] neg_hi:[0,0,1]
	v_pk_fma_f32 v[32:33], v[32:33], v[2:3], v[84:85] op_sel:[0,0,1] op_sel_hi:[0,1,0]
	v_pk_fma_f32 v[72:73], v[34:35], v[4:5], v[86:87] op_sel:[0,0,1] op_sel_hi:[1,1,0] neg_lo:[0,0,1] neg_hi:[0,0,1]
	v_pk_fma_f32 v[34:35], v[34:35], v[4:5], v[86:87] op_sel:[0,0,1] op_sel_hi:[0,1,0]
	;; [unrolled: 2-line block ×8, first 2 shown]
	v_pk_mul_f32 v[96:97], v[28:29], v[64:65] op_sel:[1,0]
	v_pk_fma_f32 v[84:85], v[66:67], v[0:1], v[30:31] op_sel:[1,0,0] neg_lo:[0,0,1] neg_hi:[0,0,1]
	v_pk_fma_f32 v[30:31], v[66:67], v[0:1], v[30:31] op_sel:[1,0,0]
	v_pk_fma_f32 v[46:47], v[70:71], v[18:19], v[80:81] op_sel:[0,0,1] op_sel_hi:[1,1,0] neg_lo:[0,0,1] neg_hi:[0,0,1]
	v_pk_fma_f32 v[66:67], v[70:71], v[18:19], v[80:81] op_sel:[0,0,1] op_sel_hi:[0,1,0]
	v_pk_fma_f32 v[90:91], v[26:27], v[20:21], v[98:99] op_sel:[0,0,1] op_sel_hi:[1,1,0] neg_lo:[0,0,1] neg_hi:[0,0,1]
	v_pk_fma_f32 v[26:27], v[26:27], v[20:21], v[98:99] op_sel:[0,0,1] op_sel_hi:[0,1,0]
	v_pk_fma_f32 v[92:93], v[28:29], v[22:23], v[96:97] neg_lo:[0,0,1] neg_hi:[0,0,1]
	v_pk_fma_f32 v[28:29], v[28:29], v[22:23], v[96:97] op_sel_hi:[0,1,1]
	v_mov_b32_e32 v91, v27
	v_mov_b32_e32 v47, v67
	;; [unrolled: 1-line block ×6, first 2 shown]
	v_pk_add_f32 v[178:179], v[90:91], v[46:47] neg_lo:[0,1] neg_hi:[0,1]
	v_pk_add_f32 v[66:67], v[90:91], v[46:47]
	v_pk_add_f32 v[188:189], v[84:85], v[42:43] neg_lo:[0,1] neg_hi:[0,1]
	v_pk_mul_f32 v[26:27], v[178:179], s[14:15] op_sel:[1,0] op_sel_hi:[0,0]
	v_pk_add_f32 v[182:183], v[92:93], v[44:45] neg_lo:[0,1] neg_hi:[0,1]
	v_mov_b32_e32 v79, v83
	v_pk_add_f32 v[190:191], v[84:85], v[42:43]
	v_pk_add_f32 v[184:185], v[92:93], v[44:45]
	v_pk_mul_f32 v[28:29], v[188:189], s[18:19] op_sel:[1,0] op_sel_hi:[0,0]
	v_pk_fma_f32 v[80:81], v[66:67], s[10:11], v[26:27] op_sel_hi:[1,0,1]
	v_pk_fma_f32 v[82:83], v[66:67], s[10:11], v[26:27] op_sel_hi:[1,0,1] neg_lo:[0,0,1] neg_hi:[0,0,1]
	v_pk_mul_f32 v[30:31], v[182:183], s[12:13] op_sel:[1,0] op_sel_hi:[0,0]
	v_mov_b32_e32 v41, v87
	v_pk_fma_f32 v[26:27], v[190:191], s[16:17], v[28:29] op_sel_hi:[1,0,1]
	v_pk_fma_f32 v[70:71], v[190:191], s[16:17], v[28:29] op_sel_hi:[1,0,1] neg_lo:[0,0,1] neg_hi:[0,0,1]
	v_mov_b32_e32 v28, v80
	v_mov_b32_e32 v29, v83
	v_pk_fma_f32 v[86:87], v[184:185], s[0:1], v[30:31] op_sel_hi:[1,0,1]
	v_pk_fma_f32 v[88:89], v[184:185], s[0:1], v[30:31] op_sel_hi:[1,0,1] neg_lo:[0,0,1] neg_hi:[0,0,1]
	v_mov_b32_e32 v69, v33
	v_pk_add_f32 v[28:29], v[24:25], v[28:29]
	v_mov_b32_e32 v32, v86
	v_mov_b32_e32 v33, v89
	v_pk_add_f32 v[192:193], v[68:69], v[40:41] neg_lo:[0,1] neg_hi:[0,1]
	v_mov_b32_e32 v30, v26
	v_mov_b32_e32 v31, v71
	v_pk_add_f32 v[28:29], v[32:33], v[28:29]
	v_pk_add_f32 v[194:195], v[68:69], v[40:41]
	;; [unrolled: 1-line block ×3, first 2 shown]
	v_pk_mul_f32 v[30:31], v[192:193], s[34:35] op_sel:[1,0] op_sel_hi:[0,0]
	v_mov_b32_e32 v73, v35
	v_pk_fma_f32 v[94:95], v[194:195], s[20:21], v[30:31] op_sel_hi:[1,0,1]
	v_pk_fma_f32 v[96:97], v[194:195], s[20:21], v[30:31] op_sel_hi:[1,0,1] neg_lo:[0,0,1] neg_hi:[0,0,1]
	v_mov_b32_e32 v30, v94
	v_mov_b32_e32 v31, v97
	v_pk_add_f32 v[196:197], v[72:73], v[78:79] neg_lo:[0,1] neg_hi:[0,1]
	v_pk_add_f32 v[28:29], v[30:31], v[28:29]
	v_pk_add_f32 v[198:199], v[72:73], v[78:79]
	v_pk_mul_f32 v[30:31], v[196:197], s[26:27] op_sel:[1,0] op_sel_hi:[0,0]
	v_pk_fma_f32 v[98:99], v[198:199], s[22:23], v[30:31] op_sel_hi:[1,0,1]
	v_pk_fma_f32 v[100:101], v[198:199], s[22:23], v[30:31] op_sel_hi:[1,0,1] neg_lo:[0,0,1] neg_hi:[0,0,1]
	v_mov_b32_e32 v30, v98
	v_mov_b32_e32 v31, v101
	v_pk_add_f32 v[28:29], v[30:31], v[28:29]
	v_pk_mul_f32 v[30:31], v[178:179], s[24:25] op_sel:[1,0] op_sel_hi:[0,0]
	v_pk_fma_f32 v[102:103], v[66:67], s[22:23], v[30:31] op_sel_hi:[1,0,1]
	v_pk_fma_f32 v[104:105], v[66:67], s[22:23], v[30:31] op_sel_hi:[1,0,1] neg_lo:[0,0,1] neg_hi:[0,0,1]
	v_pk_mul_f32 v[32:33], v[182:183], s[18:19] op_sel:[1,0] op_sel_hi:[0,0]
	v_mov_b32_e32 v30, v102
	v_mov_b32_e32 v31, v105
	v_pk_fma_f32 v[106:107], v[184:185], s[16:17], v[32:33] op_sel_hi:[1,0,1]
	v_pk_fma_f32 v[108:109], v[184:185], s[16:17], v[32:33] op_sel_hi:[1,0,1] neg_lo:[0,0,1] neg_hi:[0,0,1]
	v_pk_add_f32 v[30:31], v[24:25], v[30:31]
	v_mov_b32_e32 v32, v106
	v_mov_b32_e32 v33, v109
	v_pk_add_f32 v[30:31], v[32:33], v[30:31]
	v_pk_mul_f32 v[32:33], v[188:189], s[28:29] op_sel:[1,0] op_sel_hi:[0,0]
	v_pk_fma_f32 v[110:111], v[190:191], s[0:1], v[32:33] op_sel_hi:[1,0,1]
	v_pk_fma_f32 v[112:113], v[190:191], s[0:1], v[32:33] op_sel_hi:[1,0,1] neg_lo:[0,0,1] neg_hi:[0,0,1]
	v_mov_b32_e32 v32, v110
	v_mov_b32_e32 v33, v113
	v_pk_add_f32 v[30:31], v[32:33], v[30:31]
	v_pk_mul_f32 v[32:33], v[192:193], s[36:37] op_sel:[1,0] op_sel_hi:[0,0]
	v_pk_fma_f32 v[114:115], v[194:195], s[30:31], v[32:33] op_sel_hi:[1,0,1]
	v_pk_fma_f32 v[116:117], v[194:195], s[30:31], v[32:33] op_sel_hi:[1,0,1] neg_lo:[0,0,1] neg_hi:[0,0,1]
	v_mov_b32_e32 v32, v114
	v_mov_b32_e32 v33, v117
	v_pk_add_f32 v[30:31], v[32:33], v[30:31]
	v_pk_mul_f32 v[32:33], v[196:197], s[14:15] op_sel:[1,0] op_sel_hi:[0,0]
	v_mov_b32_e32 v75, v37
	v_mov_b32_e32 v77, v39
	v_pk_fma_f32 v[118:119], v[198:199], s[10:11], v[32:33] op_sel_hi:[1,0,1]
	v_pk_fma_f32 v[120:121], v[198:199], s[10:11], v[32:33] op_sel_hi:[1,0,1] neg_lo:[0,0,1] neg_hi:[0,0,1]
	v_mov_b32_e32 v32, v118
	v_mov_b32_e32 v33, v121
	v_pk_add_f32 v[200:201], v[74:75], v[76:77] neg_lo:[0,1] neg_hi:[0,1]
	v_pk_add_f32 v[32:33], v[32:33], v[30:31]
	v_pk_add_f32 v[202:203], v[74:75], v[76:77]
	v_pk_mul_f32 v[30:31], v[200:201], s[36:37] op_sel:[1,0] op_sel_hi:[0,0]
	v_pk_fma_f32 v[142:143], v[202:203], s[30:31], v[30:31] op_sel_hi:[1,0,1]
	v_pk_fma_f32 v[144:145], v[202:203], s[30:31], v[30:31] op_sel_hi:[1,0,1] neg_lo:[0,0,1] neg_hi:[0,0,1]
	s_mov_b32 s28, 0xbf29c268
	v_mov_b32_e32 v30, v142
	v_mov_b32_e32 v31, v145
	v_pk_add_f32 v[30:31], v[30:31], v[28:29]
	v_pk_mul_f32 v[28:29], v[200:201], s[28:29] op_sel:[1,0] op_sel_hi:[0,0]
	v_pk_fma_f32 v[122:123], v[202:203], s[20:21], v[28:29] op_sel_hi:[1,0,1]
	v_pk_fma_f32 v[124:125], v[202:203], s[20:21], v[28:29] op_sel_hi:[1,0,1] neg_lo:[0,0,1] neg_hi:[0,0,1]
	v_mov_b32_e32 v28, v122
	v_mov_b32_e32 v29, v125
	v_pk_add_f32 v[28:29], v[28:29], v[32:33]
	v_pk_mul_f32 v[32:33], v[178:179], s[12:13] op_sel:[1,0] op_sel_hi:[0,0]
	v_pk_fma_f32 v[126:127], v[66:67], s[0:1], v[32:33] op_sel_hi:[1,0,1]
	v_pk_fma_f32 v[128:129], v[66:67], s[0:1], v[32:33] op_sel_hi:[1,0,1] neg_lo:[0,0,1] neg_hi:[0,0,1]
	v_pk_mul_f32 v[34:35], v[182:183], s[34:35] op_sel:[1,0] op_sel_hi:[0,0]
	v_mov_b32_e32 v32, v126
	v_mov_b32_e32 v33, v129
	v_pk_fma_f32 v[130:131], v[184:185], s[20:21], v[34:35] op_sel_hi:[1,0,1]
	v_pk_fma_f32 v[132:133], v[184:185], s[20:21], v[34:35] op_sel_hi:[1,0,1] neg_lo:[0,0,1] neg_hi:[0,0,1]
	v_pk_add_f32 v[32:33], v[24:25], v[32:33]
	v_mov_b32_e32 v34, v130
	v_mov_b32_e32 v35, v133
	v_pk_add_f32 v[32:33], v[34:35], v[32:33]
	v_pk_mul_f32 v[34:35], v[188:189], s[36:37] op_sel:[1,0] op_sel_hi:[0,0]
	v_pk_fma_f32 v[134:135], v[190:191], s[30:31], v[34:35] op_sel_hi:[1,0,1]
	v_pk_fma_f32 v[136:137], v[190:191], s[30:31], v[34:35] op_sel_hi:[1,0,1] neg_lo:[0,0,1] neg_hi:[0,0,1]
	v_mov_b32_e32 v34, v134
	v_mov_b32_e32 v35, v137
	v_pk_add_f32 v[32:33], v[34:35], v[32:33]
	v_pk_mul_f32 v[34:35], v[192:193], s[24:25] op_sel:[1,0] op_sel_hi:[0,0]
	v_pk_fma_f32 v[138:139], v[194:195], s[22:23], v[34:35] op_sel_hi:[1,0,1]
	v_pk_fma_f32 v[140:141], v[194:195], s[22:23], v[34:35] op_sel_hi:[1,0,1] neg_lo:[0,0,1] neg_hi:[0,0,1]
	v_mov_b32_e32 v34, v138
	v_mov_b32_e32 v35, v141
	s_mov_b32 s34, 0x3e750f2a
	v_pk_add_f32 v[32:33], v[34:35], v[32:33]
	v_pk_mul_f32 v[34:35], v[196:197], s[34:35] op_sel:[1,0] op_sel_hi:[0,0]
	v_pk_fma_f32 v[146:147], v[198:199], s[16:17], v[34:35] op_sel_hi:[1,0,1]
	v_pk_fma_f32 v[148:149], v[198:199], s[16:17], v[34:35] op_sel_hi:[1,0,1] neg_lo:[0,0,1] neg_hi:[0,0,1]
	v_mov_b32_e32 v34, v146
	v_mov_b32_e32 v35, v149
	v_pk_add_f32 v[32:33], v[34:35], v[32:33]
	v_pk_mul_f32 v[34:35], v[178:179], s[28:29] op_sel:[1,0] op_sel_hi:[0,0]
	v_pk_fma_f32 v[150:151], v[66:67], s[20:21], v[34:35] op_sel_hi:[1,0,1]
	v_pk_fma_f32 v[152:153], v[66:67], s[20:21], v[34:35] op_sel_hi:[1,0,1] neg_lo:[0,0,1] neg_hi:[0,0,1]
	v_pk_mul_f32 v[36:37], v[182:183], s[26:27] op_sel:[1,0] op_sel_hi:[0,0]
	v_mov_b32_e32 v34, v150
	v_mov_b32_e32 v35, v153
	v_pk_fma_f32 v[154:155], v[184:185], s[22:23], v[36:37] op_sel_hi:[1,0,1]
	v_pk_fma_f32 v[156:157], v[184:185], s[22:23], v[36:37] op_sel_hi:[1,0,1] neg_lo:[0,0,1] neg_hi:[0,0,1]
	v_pk_add_f32 v[34:35], v[24:25], v[34:35]
	v_mov_b32_e32 v36, v154
	v_mov_b32_e32 v37, v157
	v_pk_add_f32 v[34:35], v[36:37], v[34:35]
	v_pk_mul_f32 v[36:37], v[188:189], s[14:15] op_sel:[1,0] op_sel_hi:[0,0]
	v_pk_fma_f32 v[158:159], v[190:191], s[10:11], v[36:37] op_sel_hi:[1,0,1]
	v_pk_fma_f32 v[160:161], v[190:191], s[10:11], v[36:37] op_sel_hi:[1,0,1] neg_lo:[0,0,1] neg_hi:[0,0,1]
	v_mov_b32_e32 v36, v158
	v_mov_b32_e32 v37, v161
	v_pk_add_f32 v[34:35], v[36:37], v[34:35]
	v_pk_mul_f32 v[36:37], v[192:193], s[34:35] op_sel:[1,0] op_sel_hi:[0,0]
	v_pk_fma_f32 v[162:163], v[194:195], s[16:17], v[36:37] op_sel_hi:[1,0,1]
	v_pk_fma_f32 v[164:165], v[194:195], s[16:17], v[36:37] op_sel_hi:[1,0,1] neg_lo:[0,0,1] neg_hi:[0,0,1]
	;; [unrolled: 6-line block ×3, first 2 shown]
	v_mov_b32_e32 v36, v166
	v_mov_b32_e32 v37, v169
	s_mov_b32 s34, 0x3f52af12
	v_pk_add_f32 v[36:37], v[36:37], v[34:35]
	v_pk_mul_f32 v[34:35], v[200:201], s[34:35] op_sel:[1,0] op_sel_hi:[0,0]
	v_pk_fma_f32 v[174:175], v[202:203], s[10:11], v[34:35] op_sel_hi:[1,0,1]
	v_pk_fma_f32 v[176:177], v[202:203], s[10:11], v[34:35] op_sel_hi:[1,0,1] neg_lo:[0,0,1] neg_hi:[0,0,1]
	v_mov_b32_e32 v34, v174
	v_mov_b32_e32 v35, v177
	v_pk_add_f32 v[34:35], v[34:35], v[32:33]
	v_pk_mul_f32 v[32:33], v[200:201], s[12:13] op_sel:[1,0] op_sel_hi:[0,0]
	v_pk_fma_f32 v[170:171], v[202:203], s[0:1], v[32:33] op_sel_hi:[1,0,1]
	v_pk_fma_f32 v[172:173], v[202:203], s[0:1], v[32:33] op_sel_hi:[1,0,1] neg_lo:[0,0,1] neg_hi:[0,0,1]
	v_mov_b32_e32 v32, v170
	v_mov_b32_e32 v33, v173
	v_pk_add_f32 v[32:33], v[32:33], v[36:37]
	v_pk_mul_f32 v[36:37], v[178:179], s[18:19] op_sel:[1,0] op_sel_hi:[0,0]
	v_pk_fma_f32 v[38:39], v[66:67], s[16:17], v[36:37] op_sel_hi:[1,0,1]
	v_pk_fma_f32 v[36:37], v[66:67], s[16:17], v[36:37] op_sel_hi:[1,0,1] neg_lo:[0,0,1] neg_hi:[0,0,1]
	v_pk_mul_f32 v[186:187], v[182:183], s[36:37] op_sel:[1,0] op_sel_hi:[0,0]
	v_mov_b32_e32 v180, v38
	v_mov_b32_e32 v181, v37
	v_pk_fma_f32 v[208:209], v[184:185], s[30:31], v[186:187] op_sel_hi:[1,0,1]
	v_pk_fma_f32 v[186:187], v[184:185], s[30:31], v[186:187] op_sel_hi:[1,0,1] neg_lo:[0,0,1] neg_hi:[0,0,1]
	v_pk_add_f32 v[180:181], v[24:25], v[180:181]
	v_mov_b32_e32 v210, v208
	v_mov_b32_e32 v211, v187
	v_pk_add_f32 v[180:181], v[210:211], v[180:181]
	v_pk_mul_f32 v[210:211], v[188:189], s[28:29] op_sel:[1,0] op_sel_hi:[0,0]
	v_pk_fma_f32 v[212:213], v[190:191], s[20:21], v[210:211] op_sel_hi:[1,0,1]
	v_pk_fma_f32 v[210:211], v[190:191], s[20:21], v[210:211] op_sel_hi:[1,0,1] neg_lo:[0,0,1] neg_hi:[0,0,1]
	v_mov_b32_e32 v214, v212
	v_mov_b32_e32 v215, v211
	v_pk_add_f32 v[180:181], v[214:215], v[180:181]
	v_pk_mul_f32 v[214:215], v[192:193], s[34:35] op_sel:[1,0] op_sel_hi:[0,0]
	v_pk_fma_f32 v[216:217], v[194:195], s[10:11], v[214:215] op_sel_hi:[1,0,1]
	v_pk_fma_f32 v[214:215], v[194:195], s[10:11], v[214:215] op_sel_hi:[1,0,1] neg_lo:[0,0,1] neg_hi:[0,0,1]
	v_mov_b32_e32 v218, v216
	v_mov_b32_e32 v219, v215
	v_pk_add_f32 v[180:181], v[218:219], v[180:181]
	v_pk_mul_f32 v[218:219], v[196:197], s[12:13] op_sel:[1,0] op_sel_hi:[0,0]
	v_mov_b32_e32 v37, v39
	v_pk_fma_f32 v[220:221], v[198:199], s[0:1], v[218:219] op_sel_hi:[1,0,1]
	v_pk_fma_f32 v[218:219], v[198:199], s[0:1], v[218:219] op_sel_hi:[1,0,1] neg_lo:[0,0,1] neg_hi:[0,0,1]
	v_mov_b32_e32 v187, v209
	v_pk_add_f32 v[36:37], v[24:25], v[36:37]
	v_pk_mul_f32 v[38:39], v[200:201], s[26:27] op_sel:[1,0] op_sel_hi:[0,0]
	v_mov_b32_e32 v222, v220
	v_mov_b32_e32 v223, v219
	v_pk_add_f32 v[36:37], v[186:187], v[36:37]
	v_pk_fma_f32 v[186:187], v[202:203], s[22:23], v[38:39] op_sel_hi:[1,0,1] neg_lo:[0,0,1] neg_hi:[0,0,1]
	v_pk_fma_f32 v[38:39], v[202:203], s[22:23], v[38:39] op_sel_hi:[1,0,1]
	s_mov_b32 s26, 0xbeedf032
	v_pk_add_f32 v[180:181], v[222:223], v[180:181]
	v_mov_b32_e32 v209, v39
	v_mov_b32_e32 v39, v187
	v_pk_mul_f32 v[178:179], v[178:179], s[26:27] op_sel:[1,0] op_sel_hi:[0,0]
	v_mov_b32_e32 v208, v186
	v_pk_add_f32 v[38:39], v[38:39], v[180:181]
	v_pk_fma_f32 v[180:181], v[66:67], s[30:31], v[178:179] op_sel_hi:[1,0,1]
	v_pk_fma_f32 v[186:187], v[66:67], s[30:31], v[178:179] op_sel_hi:[1,0,1] neg_lo:[0,0,1] neg_hi:[0,0,1]
	v_pk_mul_f32 v[66:67], v[182:183], s[14:15] op_sel:[1,0] op_sel_hi:[0,0]
	v_pk_fma_f32 v[182:183], v[184:185], s[10:11], v[66:67] op_sel_hi:[1,0,1]
	v_pk_fma_f32 v[184:185], v[184:185], s[10:11], v[66:67] op_sel_hi:[1,0,1] neg_lo:[0,0,1] neg_hi:[0,0,1]
	v_mov_b32_e32 v66, v180
	v_mov_b32_e32 v67, v187
	v_pk_add_f32 v[66:67], v[24:25], v[66:67]
	v_mov_b32_e32 v178, v182
	v_mov_b32_e32 v179, v185
	v_pk_add_f32 v[66:67], v[178:179], v[66:67]
	v_pk_mul_f32 v[178:179], v[188:189], s[24:25] op_sel:[1,0] op_sel_hi:[0,0]
	v_pk_fma_f32 v[188:189], v[190:191], s[22:23], v[178:179] op_sel_hi:[1,0,1]
	v_pk_fma_f32 v[190:191], v[190:191], s[22:23], v[178:179] op_sel_hi:[1,0,1] neg_lo:[0,0,1] neg_hi:[0,0,1]
	v_mov_b32_e32 v178, v188
	v_mov_b32_e32 v179, v191
	v_pk_add_f32 v[66:67], v[178:179], v[66:67]
	v_pk_mul_f32 v[178:179], v[192:193], s[12:13] op_sel:[1,0] op_sel_hi:[0,0]
	v_pk_fma_f32 v[192:193], v[194:195], s[0:1], v[178:179] op_sel_hi:[1,0,1]
	v_pk_fma_f32 v[194:195], v[194:195], s[0:1], v[178:179] op_sel_hi:[1,0,1] neg_lo:[0,0,1] neg_hi:[0,0,1]
	;; [unrolled: 6-line block ×3, first 2 shown]
	v_mov_b32_e32 v211, v213
	v_mov_b32_e32 v178, v196
	;; [unrolled: 1-line block ×3, first 2 shown]
	v_pk_add_f32 v[36:37], v[210:211], v[36:37]
	v_mov_b32_e32 v215, v217
	v_pk_add_f32 v[66:67], v[178:179], v[66:67]
	v_pk_mul_f32 v[178:179], v[200:201], s[18:19] op_sel:[1,0] op_sel_hi:[0,0]
	v_pk_add_f32 v[36:37], v[214:215], v[36:37]
	v_mov_b32_e32 v219, v221
	v_pk_fma_f32 v[200:201], v[202:203], s[16:17], v[178:179] op_sel_hi:[1,0,1]
	v_pk_fma_f32 v[202:203], v[202:203], s[16:17], v[178:179] op_sel_hi:[1,0,1] neg_lo:[0,0,1] neg_hi:[0,0,1]
	v_pk_add_f32 v[36:37], v[218:219], v[36:37]
	v_mov_b32_e32 v178, v200
	v_mov_b32_e32 v179, v203
	v_pk_add_f32 v[36:37], v[208:209], v[36:37]
	v_pk_add_f32 v[66:67], v[178:179], v[66:67]
	v_lshl_add_u64 v[178:179], s[8:9], 0, v[62:63]
	s_and_saveexec_b64 s[0:1], vcc
	s_cbranch_execz .LBB0_7
; %bb.6:
	v_pk_add_f32 v[90:91], v[24:25], v[90:91]
	v_mov_b32_e32 v187, v181
	v_pk_add_f32 v[90:91], v[90:91], v[92:93]
	v_mov_b32_e32 v83, v81
	;; [unrolled: 2-line block ×9, first 2 shown]
	v_pk_add_f32 v[40:41], v[40:41], v[42:43]
	v_pk_add_f32 v[42:43], v[24:25], v[82:83]
	;; [unrolled: 1-line block ×5, first 2 shown]
	ds_write_b64 v204, v[40:41]
	v_pk_add_f32 v[40:41], v[24:25], v[186:187]
	v_pk_add_f32 v[26:27], v[70:71], v[42:43]
	;; [unrolled: 1-line block ×5, first 2 shown]
	v_mov_b32_e32 v101, v99
	v_pk_add_f32 v[40:41], v[194:195], v[40:41]
	v_mov_b32_e32 v203, v201
	v_pk_add_f32 v[40:41], v[198:199], v[40:41]
	v_pk_add_f32 v[26:27], v[100:101], v[26:27]
	v_mov_b32_e32 v145, v143
	v_lshl_add_u32 v44, v49, 3, v205
	v_pk_add_f32 v[40:41], v[202:203], v[40:41]
	v_pk_add_f32 v[26:27], v[144:145], v[26:27]
	v_mov_b32_e32 v105, v103
	v_mov_b32_e32 v129, v127
	;; [unrolled: 1-line block ×3, first 2 shown]
	ds_write2_b64 v44, v[40:41], v[26:27] offset0:6 offset1:12
	v_pk_add_f32 v[26:27], v[24:25], v[104:105]
	v_mov_b32_e32 v109, v107
	v_pk_add_f32 v[40:41], v[24:25], v[128:129]
	v_mov_b32_e32 v133, v131
	;; [unrolled: 2-line block ×15, first 2 shown]
	v_pk_add_f32 v[26:27], v[124:125], v[26:27]
	v_pk_add_f32 v[40:41], v[176:177], v[40:41]
	;; [unrolled: 1-line block ×3, first 2 shown]
	ds_write2_b64 v44, v[26:27], v[40:41] offset0:18 offset1:24
	ds_write2_b64 v44, v[24:25], v[36:37] offset0:30 offset1:36
	ds_write2_b64 v44, v[38:39], v[32:33] offset0:42 offset1:48
	ds_write2_b64 v44, v[34:35], v[28:29] offset0:54 offset1:60
	ds_write2_b64 v44, v[30:31], v[66:67] offset0:66 offset1:72
.LBB0_7:
	s_or_b64 exec, exec, s[0:1]
	s_waitcnt lgkmcnt(0)
	s_barrier
	global_load_dwordx2 v[40:41], v[178:179], off offset:624
	s_add_u32 s0, s8, 0x270
	s_addc_u32 s1, s9, 0
	global_load_dwordx2 v[42:43], v62, s[0:1] offset:104
	global_load_dwordx2 v[44:45], v62, s[0:1] offset:208
	;; [unrolled: 1-line block ×5, first 2 shown]
	ds_read2_b64 v[24:27], v204 offset1:13
	s_mov_b32 s8, 0x3f5db3d7
	s_mov_b32 s10, 0.5
	s_mov_b32 s11, s8
	s_mov_b32 s0, -0.5
	s_mov_b32 s1, s8
	s_waitcnt vmcnt(5) lgkmcnt(0)
	v_mul_f32_e32 v62, v25, v41
	v_mul_f32_e32 v63, v24, v41
	v_fma_f32 v62, v24, v40, -v62
	v_fmac_f32_e32 v63, v25, v40
	s_waitcnt vmcnt(4)
	v_mul_f32_e32 v24, v27, v43
	v_mul_f32_e32 v25, v26, v43
	v_fma_f32 v24, v26, v42, -v24
	v_fmac_f32_e32 v25, v27, v42
	ds_write2_b64 v204, v[62:63], v[24:25] offset1:13
	ds_read2_b64 v[24:27], v204 offset0:26 offset1:39
	ds_read2_b64 v[40:43], v204 offset0:52 offset1:65
	s_waitcnt vmcnt(3) lgkmcnt(1)
	v_mul_f32_e32 v62, v25, v45
	v_mul_f32_e32 v63, v24, v45
	s_waitcnt vmcnt(2)
	v_mul_f32_e32 v72, v27, v47
	v_mul_f32_e32 v45, v26, v47
	s_waitcnt vmcnt(1) lgkmcnt(0)
	v_mul_f32_e32 v73, v41, v69
	v_mul_f32_e32 v47, v40, v69
	s_waitcnt vmcnt(0)
	v_mul_f32_e32 v74, v43, v71
	v_mul_f32_e32 v69, v42, v71
	v_fma_f32 v62, v24, v44, -v62
	v_fmac_f32_e32 v63, v25, v44
	v_fma_f32 v44, v26, v46, -v72
	v_fmac_f32_e32 v45, v27, v46
	;; [unrolled: 2-line block ×4, first 2 shown]
	ds_write2_b64 v204, v[62:63], v[44:45] offset0:26 offset1:39
	ds_write2_b64 v204, v[46:47], v[68:69] offset0:52 offset1:65
	s_waitcnt lgkmcnt(0)
	s_barrier
	ds_read2_b64 v[24:27], v204 offset1:13
	ds_read2_b64 v[40:43], v204 offset0:26 offset1:39
	ds_read2_b64 v[44:47], v204 offset0:52 offset1:65
	s_waitcnt lgkmcnt(0)
	s_barrier
	v_pk_add_f32 v[62:63], v[24:25], v[40:41]
	v_pk_add_f32 v[68:69], v[42:43], v[46:47]
	v_pk_add_f32 v[70:71], v[42:43], v[46:47] neg_lo:[0,1] neg_hi:[0,1]
	v_pk_add_f32 v[42:43], v[26:27], v[42:43]
	v_pk_add_f32 v[72:73], v[40:41], v[44:45]
	v_pk_add_f32 v[40:41], v[40:41], v[44:45] neg_lo:[0,1] neg_hi:[0,1]
	v_pk_add_f32 v[44:45], v[62:63], v[44:45]
	v_fma_f32 v62, -0.5, v69, v27
	v_fma_f32 v26, -0.5, v68, v26
	v_pk_add_f32 v[42:43], v[42:43], v[46:47]
	v_pk_fma_f32 v[46:47], -0.5, v[72:73], v[24:25] op_sel_hi:[0,1,1]
	v_pk_mul_f32 v[40:41], v[40:41], s[8:9] op_sel_hi:[1,0]
	s_mov_b32 s9, s10
	v_fmamk_f32 v72, v70, 0x3f5db3d7, v62
	v_fmamk_f32 v68, v71, 0xbf5db3d7, v26
	v_fmac_f32_e32 v26, 0x3f5db3d7, v71
	v_fmac_f32_e32 v62, 0xbf5db3d7, v70
	v_pk_add_f32 v[24:25], v[44:45], v[42:43]
	v_pk_add_f32 v[70:71], v[46:47], v[40:41] op_sel:[0,1] op_sel_hi:[1,0] neg_lo:[0,1] neg_hi:[0,1]
	v_pk_add_f32 v[40:41], v[46:47], v[40:41] op_sel:[0,1] op_sel_hi:[1,0]
	v_pk_add_f32 v[46:47], v[44:45], v[42:43] neg_lo:[0,1] neg_hi:[0,1]
	v_pk_mul_f32 v[42:43], v[72:73], s[8:9] op_sel_hi:[0,1]
	v_pk_mul_f32 v[44:45], v[62:63], s[8:9] op_sel_hi:[0,1]
	v_pk_fma_f32 v[62:63], v[68:69], s[10:11], v[42:43] neg_lo:[0,0,1] neg_hi:[0,0,1]
	v_pk_fma_f32 v[42:43], v[68:69], s[10:11], v[42:43] op_sel_hi:[0,1,1]
	v_mov_b32_e32 v74, v70
	v_mov_b32_e32 v75, v41
	;; [unrolled: 1-line block ×3, first 2 shown]
	v_pk_fma_f32 v[26:27], v[26:27], s[0:1], v[44:45] op_sel_hi:[0,1,1] neg_lo:[0,0,1] neg_hi:[0,0,1]
	v_mov_b32_e32 v63, v43
	v_pk_add_f32 v[44:45], v[40:41], v[26:27]
	v_pk_add_f32 v[42:43], v[40:41], v[26:27] neg_lo:[0,1] neg_hi:[0,1]
	v_pk_add_f32 v[26:27], v[74:75], v[62:63]
	v_pk_add_f32 v[40:41], v[74:75], v[62:63] neg_lo:[0,1] neg_hi:[0,1]
	ds_write_b128 v206, v[44:47] offset:16
	ds_write_b128 v206, v[24:27]
	ds_write_b128 v206, v[40:43] offset:32
	s_waitcnt lgkmcnt(0)
	s_barrier
	s_and_saveexec_b64 s[0:1], vcc
	s_cbranch_execz .LBB0_9
; %bb.8:
	ds_read2_b64 v[24:27], v204 offset1:6
	ds_read2_b64 v[44:47], v204 offset0:12 offset1:18
	ds_read2_b64 v[40:43], v204 offset0:24 offset1:30
	;; [unrolled: 1-line block ×5, first 2 shown]
	ds_read_b64 v[66:67], v204 offset:576
.LBB0_9:
	s_or_b64 exec, exec, s[0:1]
	s_and_saveexec_b64 s[0:1], vcc
	s_cbranch_execz .LBB0_11
; %bb.10:
	v_mov_b32_e32 v72, v21
	s_waitcnt lgkmcnt(6)
	v_mov_b32_e32 v70, v27
	v_pk_mul_f32 v[72:73], v[72:73], v[26:27]
	s_waitcnt lgkmcnt(5)
	v_mov_b32_e32 v74, v45
	v_pk_fma_f32 v[70:71], v[20:21], v[70:71], v[72:73] neg_lo:[0,0,1] neg_hi:[0,0,1]
	v_pk_mul_f32 v[72:73], v[20:21], v[26:27]
	v_mov_b32_e32 v62, v1
	v_mov_b32_e32 v72, v73
	v_pk_fma_f32 v[20:21], v[20:21], v[26:27], v[72:73]
	v_pk_mul_f32 v[72:73], v[64:65], v[44:45]
	v_mov_b32_e32 v63, v0
	v_mov_b32_e32 v72, v73
	v_pk_fma_f32 v[72:73], v[64:65], v[44:45], v[72:73] neg_lo:[1,0,0] neg_hi:[1,0,0]
	v_pk_mul_f32 v[64:65], v[64:65], v[74:75]
	v_mov_b32_e32 v74, v47
	v_pk_fma_f32 v[22:23], v[22:23], v[44:45], v[64:65]
	v_pk_mul_f32 v[64:65], v[62:63], v[46:47]
	v_mov_b32_e32 v83, v70
	v_mov_b32_e32 v64, v65
	s_waitcnt lgkmcnt(1)
	v_pk_mul_f32 v[44:45], v[14:15], v[28:29] op_sel:[0,1]
	v_pk_fma_f32 v[64:65], v[62:63], v[46:47], v[64:65] neg_lo:[1,0,0] neg_hi:[1,0,0]
	v_pk_mul_f32 v[62:63], v[62:63], v[74:75]
	v_pk_add_f32 v[82:83], v[82:83], v[24:25]
	v_pk_add_f32 v[84:85], v[24:25], v[20:21]
	s_waitcnt lgkmcnt(0)
	v_pk_mul_f32 v[68:69], v[18:19], v[66:67] op_sel:[0,1]
	v_pk_mul_f32 v[26:27], v[16:17], v[30:31] op_sel:[0,1]
	v_pk_fma_f32 v[46:47], v[0:1], v[46:47], v[62:63]
	v_pk_mul_f32 v[62:63], v[2:3], v[40:41] op_sel_hi:[1,0]
	v_pk_fma_f32 v[88:89], v[14:15], v[28:29], v[44:45] op_sel:[0,0,1] op_sel_hi:[1,0,0]
	v_pk_fma_f32 v[44:45], v[14:15], v[28:29], v[44:45] op_sel:[0,0,1] op_sel_hi:[1,0,0] neg_lo:[1,0,0] neg_hi:[1,0,0]
	v_mov_b32_e32 v28, v22
	v_mov_b32_e32 v29, v72
	;; [unrolled: 1-line block ×3, first 2 shown]
	v_pk_mul_f32 v[76:77], v[4:5], v[42:43] op_sel:[0,1]
	v_pk_fma_f32 v[86:87], v[18:19], v[66:67], v[68:69] op_sel:[0,0,1] op_sel_hi:[1,0,0]
	v_pk_fma_f32 v[18:19], v[18:19], v[66:67], v[68:69] op_sel:[0,0,1] op_sel_hi:[1,0,0] neg_lo:[1,0,0] neg_hi:[1,0,0]
	v_pk_fma_f32 v[68:69], v[16:17], v[30:31], v[26:27] op_sel:[0,0,1] op_sel_hi:[1,0,0]
	v_pk_fma_f32 v[16:17], v[16:17], v[30:31], v[26:27] op_sel:[0,0,1] op_sel_hi:[1,0,0] neg_lo:[1,0,0] neg_hi:[1,0,0]
	;; [unrolled: 2-line block ×3, first 2 shown]
	v_pk_add_f32 v[28:29], v[28:29], v[84:85]
	v_mov_b32_e32 v30, v46
	v_mov_b32_e32 v31, v64
	v_pk_mul_f32 v[74:75], v[10:11], v[32:33] op_sel:[0,1]
	v_pk_mul_f32 v[80:81], v[6:7], v[36:37] op_sel:[0,1]
	v_mov_b32_e32 v2, v90
	v_mov_b32_e32 v3, v41
	v_pk_fma_f32 v[92:93], v[4:5], v[42:43], v[76:77] op_sel:[0,0,1] op_sel_hi:[1,0,0]
	v_pk_fma_f32 v[42:43], v[4:5], v[42:43], v[76:77] op_sel:[0,0,1] op_sel_hi:[1,0,0] neg_lo:[1,0,0] neg_hi:[1,0,0]
	v_pk_add_f32 v[28:29], v[30:31], v[28:29]
	v_pk_mul_f32 v[78:79], v[8:9], v[38:39] op_sel:[0,1]
	v_mov_b32_e32 v4, v92
	v_mov_b32_e32 v5, v43
	v_pk_fma_f32 v[76:77], v[10:11], v[32:33], v[74:75] op_sel:[0,0,1] op_sel_hi:[1,0,0]
	v_pk_fma_f32 v[10:11], v[10:11], v[32:33], v[74:75] op_sel:[0,0,1] op_sel_hi:[1,0,0] neg_lo:[1,0,0] neg_hi:[1,0,0]
	v_pk_fma_f32 v[74:75], v[6:7], v[36:37], v[80:81] op_sel:[0,0,1] op_sel_hi:[1,0,0]
	v_pk_fma_f32 v[80:81], v[6:7], v[36:37], v[80:81] op_sel:[0,0,1] op_sel_hi:[1,0,0] neg_lo:[1,0,0] neg_hi:[1,0,0]
	v_pk_add_f32 v[2:3], v[2:3], v[28:29]
	v_mov_b32_e32 v6, v74
	v_mov_b32_e32 v7, v81
	v_pk_fma_f32 v[94:95], v[8:9], v[38:39], v[78:79] op_sel:[0,0,1] op_sel_hi:[1,0,0]
	v_pk_fma_f32 v[38:39], v[8:9], v[38:39], v[78:79] op_sel:[0,0,1] op_sel_hi:[1,0,0] neg_lo:[1,0,0] neg_hi:[1,0,0]
	v_pk_add_f32 v[2:3], v[4:5], v[2:3]
	v_pk_mul_f32 v[0:1], v[12:13], v[34:35] op_sel:[0,1]
	v_mov_b32_e32 v8, v94
	v_mov_b32_e32 v9, v39
	v_pk_add_f32 v[2:3], v[6:7], v[2:3]
	v_pk_fma_f32 v[62:63], v[12:13], v[34:35], v[0:1] op_sel:[0,0,1] op_sel_hi:[1,0,0]
	v_pk_fma_f32 v[34:35], v[12:13], v[34:35], v[0:1] op_sel:[0,0,1] op_sel_hi:[1,0,0] neg_lo:[1,0,0] neg_hi:[1,0,0]
	v_mov_b32_e32 v12, v76
	v_mov_b32_e32 v13, v11
	v_pk_add_f32 v[2:3], v[8:9], v[2:3]
	v_mov_b32_e32 v0, v62
	v_mov_b32_e32 v1, v35
	v_pk_add_f32 v[2:3], v[12:13], v[2:3]
	;; [unrolled: 3-line block ×5, first 2 shown]
	v_pk_add_f32 v[2:3], v[20:21], v[86:87] neg_lo:[0,1] neg_hi:[0,1]
	v_pk_add_f32 v[0:1], v[66:67], v[0:1]
	ds_write_b64 v204, v[0:1]
	v_pk_add_f32 v[0:1], v[20:21], v[86:87]
	v_pk_add_f32 v[4:5], v[22:23], v[68:69] neg_lo:[0,1] neg_hi:[0,1]
	v_mov_b32_e32 v1, v2
	v_pk_add_f32 v[2:3], v[22:23], v[68:69]
	v_pk_add_f32 v[6:7], v[46:47], v[88:89] neg_lo:[0,1] neg_hi:[0,1]
	v_mov_b32_e32 v3, v4
	;; [unrolled: 3-line block ×3, first 2 shown]
	v_pk_add_f32 v[6:7], v[90:91], v[62:63]
	v_pk_add_f32 v[26:27], v[70:71], v[18:19] op_sel:[0,1] neg_lo:[0,1] neg_hi:[0,1]
	v_pk_add_f32 v[12:13], v[70:71], v[18:19] op_sel_hi:[0,1]
	v_pk_add_f32 v[32:33], v[40:41], v[34:35] neg_lo:[0,1] neg_hi:[0,1]
	v_pk_add_f32 v[18:19], v[40:41], v[34:35]
	v_mov_b32_e32 v7, v8
	v_pk_add_f32 v[34:35], v[42:43], v[10:11] neg_lo:[0,1] neg_hi:[0,1]
	v_pk_add_f32 v[20:21], v[42:43], v[10:11]
	v_pk_add_f32 v[8:9], v[92:93], v[76:77]
	v_pk_add_f32 v[10:11], v[92:93], v[76:77] neg_lo:[0,1] neg_hi:[0,1]
	s_mov_b32 s9, 0xbeedf032
	s_mov_b32 s8, 0x3f62ad3f
	s_mov_b32 s10, 0x3f116cb1
	v_mov_b32_e32 v12, v26
	v_pk_add_f32 v[28:29], v[72:73], v[16:17] op_sel:[0,1] neg_lo:[0,1] neg_hi:[0,1]
	v_pk_add_f32 v[14:15], v[72:73], v[16:17] op_sel_hi:[0,1]
	v_mov_b32_e32 v9, v10
	v_pk_add_f32 v[36:37], v[80:81], v[38:39] neg_lo:[0,1] neg_hi:[0,1]
	v_pk_add_f32 v[22:23], v[80:81], v[38:39]
	v_pk_add_f32 v[10:11], v[74:75], v[94:95]
	v_pk_add_f32 v[38:39], v[74:75], v[94:95] neg_lo:[0,1] neg_hi:[0,1]
	v_pk_mul_f32 v[40:41], v[0:1], s[8:9]
	s_mov_b32 s24, s9
	s_mov_b32 s25, s8
	;; [unrolled: 1-line block ×3, first 2 shown]
	v_mov_b32_e32 v14, v28
	v_mov_b32_e32 v11, v38
	v_pk_mul_f32 v[42:43], v[2:3], s[10:11]
	s_mov_b32 s38, s11
	s_mov_b32 s39, s10
	;; [unrolled: 1-line block ×3, first 2 shown]
	v_pk_fma_f32 v[38:39], v[26:27], s[24:25], v[40:41] neg_lo:[1,0,0] neg_hi:[1,0,0]
	v_pk_fma_f32 v[66:67], v[12:13], s[24:25], v[40:41]
	v_pk_add_f32 v[30:31], v[64:65], v[44:45] op_sel:[0,1] neg_lo:[0,1] neg_hi:[0,1]
	v_pk_add_f32 v[16:17], v[64:65], v[44:45] op_sel_hi:[0,1]
	s_mov_b32 s19, 0xbf7e222b
	v_mov_b32_e32 v39, v67
	v_pk_fma_f32 v[68:69], v[28:29], s[38:39], v[42:43] neg_lo:[1,0,0] neg_hi:[1,0,0]
	v_pk_fma_f32 v[70:71], v[14:15], s[38:39], v[42:43]
	v_mov_b32_e32 v16, v30
	v_pk_mul_f32 v[44:45], v[4:5], s[18:19]
	s_mov_b32 s20, s19
	s_mov_b32 s21, s18
	;; [unrolled: 1-line block ×3, first 2 shown]
	v_pk_add_f32 v[38:39], v[24:25], v[38:39]
	v_mov_b32_e32 v69, v71
	s_mov_b32 s13, 0xbf6f5d39
	v_pk_add_f32 v[38:39], v[68:69], v[38:39]
	v_pk_fma_f32 v[68:69], v[30:31], s[20:21], v[44:45] neg_lo:[1,0,0] neg_hi:[1,0,0]
	v_pk_fma_f32 v[72:73], v[16:17], s[20:21], v[44:45]
	v_mov_b32_e32 v18, v33
	v_pk_mul_f32 v[46:47], v[6:7], s[12:13]
	s_mov_b32 s22, s13
	s_mov_b32 s23, s12
	;; [unrolled: 1-line block ×3, first 2 shown]
	v_mov_b32_e32 v69, v73
	v_pk_fma_f32 v[40:41], v[12:13], s[24:25], v[40:41] neg_lo:[0,0,1] neg_hi:[0,0,1]
	s_mov_b32 s17, 0xbf29c268
	v_pk_add_f32 v[38:39], v[68:69], v[38:39]
	v_pk_fma_f32 v[68:69], v[32:33], s[22:23], v[46:47] op_sel:[1,0,0] neg_lo:[1,0,0] neg_hi:[1,0,0]
	v_pk_fma_f32 v[74:75], v[18:19], s[22:23], v[46:47]
	v_mov_b32_e32 v67, v41
	v_pk_fma_f32 v[42:43], v[14:15], s[38:39], v[42:43] neg_lo:[0,0,1] neg_hi:[0,0,1]
	v_mov_b32_e32 v20, v35
	v_pk_mul_f32 v[62:63], v[8:9], s[16:17]
	s_mov_b32 s36, s17
	s_mov_b32 s37, s16
	s_mov_b32 s14, 0xbf788fa5
	v_mov_b32_e32 v69, v75
	v_pk_add_f32 v[40:41], v[24:25], v[66:67]
	v_mov_b32_e32 v71, v43
	v_pk_fma_f32 v[42:43], v[16:17], s[20:21], v[44:45] neg_lo:[0,0,1] neg_hi:[0,0,1]
	s_mov_b32 s15, 0xbe750f2a
	v_pk_add_f32 v[38:39], v[68:69], v[38:39]
	v_pk_fma_f32 v[68:69], v[34:35], s[36:37], v[62:63] op_sel:[1,0,0] neg_lo:[1,0,0] neg_hi:[1,0,0]
	v_pk_fma_f32 v[76:77], v[20:21], s[36:37], v[62:63]
	v_pk_add_f32 v[40:41], v[70:71], v[40:41]
	v_mov_b32_e32 v73, v43
	v_pk_fma_f32 v[42:43], v[18:19], s[22:23], v[46:47] neg_lo:[0,0,1] neg_hi:[0,0,1]
	v_mov_b32_e32 v22, v37
	v_pk_mul_f32 v[64:65], v[10:11], s[14:15]
	s_mov_b32 s40, s15
	s_mov_b32 s41, s14
	v_mov_b32_e32 v69, v77
	v_pk_add_f32 v[40:41], v[72:73], v[40:41]
	v_mov_b32_e32 v75, v43
	v_pk_fma_f32 v[42:43], v[20:21], s[36:37], v[62:63] neg_lo:[0,0,1] neg_hi:[0,0,1]
	v_pk_add_f32 v[38:39], v[68:69], v[38:39]
	v_pk_fma_f32 v[68:69], v[36:37], s[40:41], v[64:65] op_sel:[1,0,0] neg_lo:[1,0,0] neg_hi:[1,0,0]
	v_pk_fma_f32 v[78:79], v[22:23], s[40:41], v[64:65]
	v_pk_add_f32 v[40:41], v[74:75], v[40:41]
	v_mov_b32_e32 v77, v43
	v_pk_fma_f32 v[42:43], v[22:23], s[40:41], v[64:65] neg_lo:[0,0,1] neg_hi:[0,0,1]
	v_mov_b32_e32 v69, v79
	v_pk_add_f32 v[40:41], v[76:77], v[40:41]
	v_mov_b32_e32 v79, v43
	v_pk_mul_f32 v[42:43], v[12:13], s[38:39]
	v_pk_add_f32 v[78:79], v[78:79], v[40:41]
	v_pk_fma_f32 v[40:41], v[0:1], s[10:11], v[42:43]
	v_pk_fma_f32 v[44:45], v[0:1], s[10:11], v[42:43] neg_lo:[1,0,0] neg_hi:[1,0,0]
	v_pk_mul_f32 v[46:47], v[14:15], s[22:23]
	v_mov_b32_e32 v44, v40
	v_pk_add_f32 v[62:63], v[24:25], v[44:45]
	v_pk_fma_f32 v[44:45], v[2:3], s[12:13], v[46:47]
	v_pk_fma_f32 v[64:65], v[2:3], s[12:13], v[46:47] neg_lo:[1,0,0] neg_hi:[1,0,0]
	v_pk_add_f32 v[38:39], v[68:69], v[38:39]
	v_mov_b32_e32 v64, v44
	v_pk_add_f32 v[66:67], v[64:65], v[62:63]
	v_pk_mul_f32 v[64:65], v[16:17], s[40:41]
	s_mov_b32 s25, 0x3f29c268
	v_pk_fma_f32 v[62:63], v[4:5], s[14:15], v[64:65]
	v_pk_fma_f32 v[68:69], v[4:5], s[14:15], v[64:65] neg_lo:[1,0,0] neg_hi:[1,0,0]
	s_mov_b32 s28, s25
	v_mov_b32_e32 v68, v62
	s_mov_b32 s29, s16
	v_pk_add_f32 v[70:71], v[68:69], v[66:67]
	s_mov_b32 s24, s16
	v_pk_mul_f32 v[68:69], v[18:19], s[28:29]
	s_mov_b32 s27, 0x3f7e222b
	v_pk_fma_f32 v[66:67], v[6:7], s[24:25], v[68:69]
	v_pk_fma_f32 v[72:73], v[6:7], s[24:25], v[68:69] neg_lo:[1,0,0] neg_hi:[1,0,0]
	s_mov_b32 s42, s27
	v_mov_b32_e32 v72, v66
	s_mov_b32 s43, s18
	v_pk_add_f32 v[74:75], v[72:73], v[70:71]
	s_mov_b32 s26, s18
	v_pk_mul_f32 v[72:73], v[20:21], s[42:43]
	s_mov_b32 s9, 0x3eedf032
	v_pk_fma_f32 v[70:71], v[8:9], s[26:27], v[72:73]
	v_pk_fma_f32 v[76:77], v[8:9], s[26:27], v[72:73] neg_lo:[1,0,0] neg_hi:[1,0,0]
	s_mov_b32 s34, s9
	v_mov_b32_e32 v76, v70
	s_mov_b32 s35, s8
	v_pk_add_f32 v[80:81], v[76:77], v[74:75]
	v_pk_mul_f32 v[76:77], v[22:23], s[34:35]
	v_lshl_add_u32 v158, v49, 3, v205
	v_pk_fma_f32 v[74:75], v[10:11], s[8:9], v[76:77]
	v_pk_fma_f32 v[82:83], v[10:11], s[8:9], v[76:77] neg_lo:[1,0,0] neg_hi:[1,0,0]
	v_pk_mul_f32 v[84:85], v[14:15], s[40:41]
	v_mov_b32_e32 v82, v74
	v_pk_add_f32 v[80:81], v[82:83], v[80:81]
	ds_write2_b64 v158, v[78:79], v[80:81] offset0:6 offset1:12
	v_pk_mul_f32 v[78:79], v[12:13], s[20:21]
	v_pk_fma_f32 v[86:87], v[2:3], s[14:15], v[84:85]
	v_pk_fma_f32 v[80:81], v[0:1], s[18:19], v[78:79]
	v_pk_fma_f32 v[82:83], v[0:1], s[18:19], v[78:79] neg_lo:[1,0,0] neg_hi:[1,0,0]
	v_pk_fma_f32 v[88:89], v[2:3], s[14:15], v[84:85] neg_lo:[1,0,0] neg_hi:[1,0,0]
	v_mov_b32_e32 v82, v80
	s_mov_b32 s31, 0x3f6f5d39
	v_pk_add_f32 v[82:83], v[24:25], v[82:83]
	v_mov_b32_e32 v88, v86
	s_mov_b32 s44, s31
	s_mov_b32 s45, s12
	v_pk_add_f32 v[82:83], v[88:89], v[82:83]
	s_mov_b32 s30, s12
	v_pk_mul_f32 v[88:89], v[16:17], s[44:45]
	v_pk_mul_f32 v[110:111], v[14:15], s[42:43]
	v_pk_fma_f32 v[90:91], v[4:5], s[30:31], v[88:89]
	v_pk_fma_f32 v[92:93], v[4:5], s[30:31], v[88:89] neg_lo:[1,0,0] neg_hi:[1,0,0]
	v_pk_fma_f32 v[112:113], v[2:3], s[26:27], v[110:111]
	v_mov_b32_e32 v92, v90
	v_pk_add_f32 v[82:83], v[92:93], v[82:83]
	v_pk_mul_f32 v[92:93], v[18:19], s[34:35]
	v_pk_fma_f32 v[114:115], v[2:3], s[26:27], v[110:111] neg_lo:[1,0,0] neg_hi:[1,0,0]
	v_pk_fma_f32 v[94:95], v[6:7], s[8:9], v[92:93]
	v_pk_fma_f32 v[96:97], v[6:7], s[8:9], v[92:93] neg_lo:[1,0,0] neg_hi:[1,0,0]
	v_mov_b32_e32 v114, v112
	v_mov_b32_e32 v96, v94
	v_pk_add_f32 v[82:83], v[96:97], v[82:83]
	v_pk_mul_f32 v[96:97], v[20:21], s[38:39]
	s_mov_b32 s45, 0x3e750f2a
	v_pk_fma_f32 v[98:99], v[8:9], s[10:11], v[96:97]
	v_pk_fma_f32 v[100:101], v[8:9], s[10:11], v[96:97] neg_lo:[1,0,0] neg_hi:[1,0,0]
	s_mov_b32 s44, s14
	v_mov_b32_e32 v100, v98
	v_pk_add_f32 v[82:83], v[100:101], v[82:83]
	v_pk_mul_f32 v[100:101], v[22:23], s[36:37]
	v_pk_mul_f32 v[136:137], v[14:15], s[34:35]
	v_pk_fma_f32 v[102:103], v[10:11], s[16:17], v[100:101]
	v_pk_fma_f32 v[104:105], v[10:11], s[16:17], v[100:101] neg_lo:[1,0,0] neg_hi:[1,0,0]
	v_pk_fma_f32 v[138:139], v[2:3], s[8:9], v[136:137]
	v_mov_b32_e32 v104, v102
	v_pk_add_f32 v[82:83], v[104:105], v[82:83]
	v_pk_mul_f32 v[104:105], v[12:13], s[36:37]
	v_pk_fma_f32 v[140:141], v[2:3], s[8:9], v[136:137] neg_lo:[1,0,0] neg_hi:[1,0,0]
	v_pk_fma_f32 v[106:107], v[0:1], s[16:17], v[104:105]
	v_pk_fma_f32 v[108:109], v[0:1], s[16:17], v[104:105] neg_lo:[1,0,0] neg_hi:[1,0,0]
	v_mov_b32_e32 v140, v138
	v_mov_b32_e32 v108, v106
	v_pk_add_f32 v[108:109], v[24:25], v[108:109]
	v_pk_fma_f32 v[104:105], v[0:1], s[16:17], v[104:105] neg_lo:[0,0,1] neg_hi:[0,0,1]
	v_pk_add_f32 v[108:109], v[114:115], v[108:109]
	v_pk_mul_f32 v[114:115], v[16:17], s[38:39]
	s_mov_b32 s38, s45
	v_pk_fma_f32 v[116:117], v[4:5], s[10:11], v[114:115]
	v_pk_fma_f32 v[118:119], v[4:5], s[10:11], v[114:115] neg_lo:[1,0,0] neg_hi:[1,0,0]
	s_mov_b32 s39, s14
	v_mov_b32_e32 v118, v116
	v_pk_add_f32 v[108:109], v[118:119], v[108:109]
	v_pk_mul_f32 v[118:119], v[18:19], s[38:39]
	v_mov_b32_e32 v105, v107
	v_pk_fma_f32 v[120:121], v[6:7], s[44:45], v[118:119]
	v_pk_fma_f32 v[122:123], v[6:7], s[44:45], v[118:119] neg_lo:[1,0,0] neg_hi:[1,0,0]
	v_pk_fma_f32 v[106:107], v[2:3], s[26:27], v[110:111] neg_lo:[0,0,1] neg_hi:[0,0,1]
	v_mov_b32_e32 v122, v120
	v_pk_add_f32 v[108:109], v[122:123], v[108:109]
	v_pk_mul_f32 v[122:123], v[20:21], s[34:35]
	v_pk_add_f32 v[104:105], v[24:25], v[104:105]
	v_pk_fma_f32 v[124:125], v[8:9], s[8:9], v[122:123]
	v_pk_fma_f32 v[126:127], v[8:9], s[8:9], v[122:123] neg_lo:[1,0,0] neg_hi:[1,0,0]
	v_mov_b32_e32 v107, v113
	v_mov_b32_e32 v126, v124
	v_pk_add_f32 v[108:109], v[126:127], v[108:109]
	v_pk_mul_f32 v[126:127], v[22:23], s[22:23]
	v_pk_add_f32 v[104:105], v[106:107], v[104:105]
	v_pk_fma_f32 v[128:129], v[10:11], s[12:13], v[126:127]
	v_pk_fma_f32 v[130:131], v[10:11], s[12:13], v[126:127] neg_lo:[1,0,0] neg_hi:[1,0,0]
	v_pk_fma_f32 v[106:107], v[4:5], s[10:11], v[114:115] neg_lo:[0,0,1] neg_hi:[0,0,1]
	v_mov_b32_e32 v130, v128
	v_pk_add_f32 v[108:109], v[130:131], v[108:109]
	v_pk_mul_f32 v[130:131], v[12:13], s[40:41]
	s_mov_b32 s41, 0x3f52af12
	v_pk_fma_f32 v[132:133], v[0:1], s[14:15], v[130:131]
	v_pk_fma_f32 v[134:135], v[0:1], s[14:15], v[130:131] neg_lo:[1,0,0] neg_hi:[1,0,0]
	s_mov_b32 s40, s10
	v_mov_b32_e32 v134, v132
	v_pk_add_f32 v[134:135], v[24:25], v[134:135]
	v_mov_b32_e32 v107, v117
	v_pk_add_f32 v[134:135], v[140:141], v[134:135]
	v_pk_mul_f32 v[140:141], v[16:17], s[36:37]
	s_mov_b32 s36, s41
	v_pk_fma_f32 v[142:143], v[4:5], s[16:17], v[140:141]
	v_pk_fma_f32 v[144:145], v[4:5], s[16:17], v[140:141] neg_lo:[1,0,0] neg_hi:[1,0,0]
	s_mov_b32 s37, s10
	v_mov_b32_e32 v144, v142
	v_pk_add_f32 v[134:135], v[144:145], v[134:135]
	v_pk_mul_f32 v[144:145], v[18:19], s[36:37]
	v_pk_add_f32 v[104:105], v[106:107], v[104:105]
	v_pk_fma_f32 v[146:147], v[6:7], s[40:41], v[144:145]
	v_pk_fma_f32 v[148:149], v[6:7], s[40:41], v[144:145] neg_lo:[1,0,0] neg_hi:[1,0,0]
	v_pk_fma_f32 v[106:107], v[6:7], s[44:45], v[118:119] neg_lo:[0,0,1] neg_hi:[0,0,1]
	v_mov_b32_e32 v148, v146
	v_pk_add_f32 v[134:135], v[148:149], v[134:135]
	v_pk_mul_f32 v[148:149], v[20:21], s[22:23]
	v_mov_b32_e32 v107, v121
	v_pk_fma_f32 v[150:151], v[8:9], s[12:13], v[148:149]
	v_pk_fma_f32 v[152:153], v[8:9], s[12:13], v[148:149] neg_lo:[1,0,0] neg_hi:[1,0,0]
	v_pk_add_f32 v[104:105], v[106:107], v[104:105]
	v_mov_b32_e32 v152, v150
	v_pk_add_f32 v[134:135], v[152:153], v[134:135]
	v_pk_mul_f32 v[152:153], v[22:23], s[42:43]
	v_pk_fma_f32 v[106:107], v[8:9], s[8:9], v[122:123] neg_lo:[0,0,1] neg_hi:[0,0,1]
	v_pk_fma_f32 v[154:155], v[10:11], s[26:27], v[152:153]
	v_pk_fma_f32 v[156:157], v[10:11], s[26:27], v[152:153] neg_lo:[1,0,0] neg_hi:[1,0,0]
	v_mov_b32_e32 v107, v125
	v_mov_b32_e32 v156, v154
	v_pk_add_f32 v[134:135], v[156:157], v[134:135]
	ds_write2_b64 v158, v[108:109], v[134:135] offset0:30 offset1:36
	v_pk_fma_f32 v[108:109], v[0:1], s[14:15], v[130:131] neg_lo:[0,0,1] neg_hi:[0,0,1]
	v_pk_fma_f32 v[130:131], v[2:3], s[8:9], v[136:137] neg_lo:[0,0,1] neg_hi:[0,0,1]
	v_mov_b32_e32 v109, v133
	v_pk_add_f32 v[108:109], v[24:25], v[108:109]
	v_mov_b32_e32 v131, v139
	v_pk_add_f32 v[108:109], v[130:131], v[108:109]
	v_pk_fma_f32 v[130:131], v[4:5], s[16:17], v[140:141] neg_lo:[0,0,1] neg_hi:[0,0,1]
	v_pk_add_f32 v[104:105], v[106:107], v[104:105]
	v_mov_b32_e32 v131, v143
	v_pk_add_f32 v[108:109], v[130:131], v[108:109]
	v_pk_fma_f32 v[130:131], v[6:7], s[40:41], v[144:145] neg_lo:[0,0,1] neg_hi:[0,0,1]
	v_pk_fma_f32 v[106:107], v[10:11], s[12:13], v[126:127] neg_lo:[0,0,1] neg_hi:[0,0,1]
	v_mov_b32_e32 v131, v147
	v_pk_add_f32 v[108:109], v[130:131], v[108:109]
	v_pk_fma_f32 v[130:131], v[8:9], s[12:13], v[148:149] neg_lo:[0,0,1] neg_hi:[0,0,1]
	v_mov_b32_e32 v107, v129
	v_mov_b32_e32 v131, v151
	v_pk_add_f32 v[108:109], v[130:131], v[108:109]
	v_pk_fma_f32 v[130:131], v[10:11], s[26:27], v[152:153] neg_lo:[0,0,1] neg_hi:[0,0,1]
	v_pk_add_f32 v[104:105], v[106:107], v[104:105]
	v_mov_b32_e32 v131, v155
	v_pk_add_f32 v[108:109], v[130:131], v[108:109]
	ds_write2_b64 v158, v[108:109], v[104:105] offset0:42 offset1:48
	v_pk_mul_f32 v[104:105], v[0:1], s[12:13]
	v_pk_mul_f32 v[106:107], v[2:3], s[24:25]
	v_pk_fma_f32 v[26:27], v[26:27], s[22:23], v[104:105] neg_lo:[1,0,0] neg_hi:[1,0,0]
	v_pk_fma_f32 v[116:117], v[12:13], s[22:23], v[104:105]
	v_pk_fma_f32 v[28:29], v[28:29], s[28:29], v[106:107] neg_lo:[1,0,0] neg_hi:[1,0,0]
	v_mov_b32_e32 v27, v117
	v_pk_fma_f32 v[118:119], v[14:15], s[28:29], v[106:107]
	v_pk_mul_f32 v[108:109], v[4:5], s[8:9]
	v_pk_add_f32 v[26:27], v[24:25], v[26:27]
	v_mov_b32_e32 v29, v119
	v_pk_add_f32 v[26:27], v[28:29], v[26:27]
	v_pk_fma_f32 v[28:29], v[30:31], s[34:35], v[108:109] neg_lo:[1,0,0] neg_hi:[1,0,0]
	v_pk_fma_f32 v[30:31], v[16:17], s[34:35], v[108:109]
	v_pk_mul_f32 v[110:111], v[6:7], s[18:19]
	v_mov_b32_e32 v29, v31
	v_pk_fma_f32 v[12:13], v[12:13], s[22:23], v[104:105] neg_lo:[0,0,1] neg_hi:[0,0,1]
	v_pk_add_f32 v[26:27], v[28:29], v[26:27]
	v_pk_fma_f32 v[28:29], v[32:33], s[20:21], v[110:111] op_sel:[1,0,0] neg_lo:[1,0,0] neg_hi:[1,0,0]
	v_pk_fma_f32 v[32:33], v[18:19], s[20:21], v[110:111]
	v_mov_b32_e32 v117, v13
	v_pk_fma_f32 v[14:15], v[14:15], s[28:29], v[106:107] neg_lo:[0,0,1] neg_hi:[0,0,1]
	v_pk_mul_f32 v[112:113], v[8:9], s[44:45]
	v_mov_b32_e32 v29, v33
	v_pk_add_f32 v[12:13], v[24:25], v[116:117]
	v_mov_b32_e32 v119, v15
	v_pk_fma_f32 v[14:15], v[16:17], s[34:35], v[108:109] neg_lo:[0,0,1] neg_hi:[0,0,1]
	v_pk_add_f32 v[26:27], v[28:29], v[26:27]
	v_pk_fma_f32 v[28:29], v[34:35], s[38:39], v[112:113] op_sel:[1,0,0] neg_lo:[1,0,0] neg_hi:[1,0,0]
	v_pk_fma_f32 v[34:35], v[20:21], s[38:39], v[112:113]
	v_pk_add_f32 v[12:13], v[118:119], v[12:13]
	v_mov_b32_e32 v31, v15
	v_pk_fma_f32 v[14:15], v[18:19], s[20:21], v[110:111] neg_lo:[0,0,1] neg_hi:[0,0,1]
	v_pk_mul_f32 v[114:115], v[10:11], s[40:41]
	v_mov_b32_e32 v29, v35
	v_pk_add_f32 v[12:13], v[30:31], v[12:13]
	v_mov_b32_e32 v33, v15
	v_pk_fma_f32 v[14:15], v[20:21], s[38:39], v[112:113] neg_lo:[0,0,1] neg_hi:[0,0,1]
	v_pk_add_f32 v[26:27], v[28:29], v[26:27]
	v_pk_fma_f32 v[28:29], v[36:37], s[36:37], v[114:115] op_sel:[1,0,0] neg_lo:[1,0,0] neg_hi:[1,0,0]
	v_pk_fma_f32 v[36:37], v[22:23], s[36:37], v[114:115]
	v_pk_add_f32 v[12:13], v[32:33], v[12:13]
	v_mov_b32_e32 v35, v15
	v_pk_fma_f32 v[14:15], v[22:23], s[36:37], v[114:115] neg_lo:[0,0,1] neg_hi:[0,0,1]
	v_mov_b32_e32 v29, v37
	v_pk_add_f32 v[12:13], v[34:35], v[12:13]
	v_mov_b32_e32 v37, v15
	v_pk_add_f32 v[12:13], v[36:37], v[12:13]
	ds_write2_b64 v158, v[82:83], v[12:13] offset0:18 offset1:24
	v_pk_fma_f32 v[12:13], v[0:1], s[18:19], v[78:79] neg_lo:[0,0,1] neg_hi:[0,0,1]
	v_pk_fma_f32 v[0:1], v[0:1], s[10:11], v[42:43] neg_lo:[0,0,1] neg_hi:[0,0,1]
	v_mov_b32_e32 v13, v81
	v_pk_fma_f32 v[14:15], v[2:3], s[14:15], v[84:85] neg_lo:[0,0,1] neg_hi:[0,0,1]
	v_mov_b32_e32 v1, v41
	v_pk_fma_f32 v[2:3], v[2:3], s[12:13], v[46:47] neg_lo:[0,0,1] neg_hi:[0,0,1]
	v_pk_add_f32 v[12:13], v[24:25], v[12:13]
	v_mov_b32_e32 v15, v87
	v_pk_add_f32 v[0:1], v[24:25], v[0:1]
	v_mov_b32_e32 v3, v45
	v_pk_add_f32 v[12:13], v[14:15], v[12:13]
	v_pk_fma_f32 v[14:15], v[4:5], s[30:31], v[88:89] neg_lo:[0,0,1] neg_hi:[0,0,1]
	v_pk_add_f32 v[0:1], v[2:3], v[0:1]
	v_pk_fma_f32 v[2:3], v[4:5], s[14:15], v[64:65] neg_lo:[0,0,1] neg_hi:[0,0,1]
	v_mov_b32_e32 v15, v91
	v_mov_b32_e32 v3, v63
	v_pk_add_f32 v[12:13], v[14:15], v[12:13]
	v_pk_fma_f32 v[14:15], v[6:7], s[8:9], v[92:93] neg_lo:[0,0,1] neg_hi:[0,0,1]
	v_pk_add_f32 v[0:1], v[2:3], v[0:1]
	v_pk_fma_f32 v[2:3], v[6:7], s[24:25], v[68:69] neg_lo:[0,0,1] neg_hi:[0,0,1]
	v_mov_b32_e32 v15, v95
	;; [unrolled: 6-line block ×4, first 2 shown]
	v_mov_b32_e32 v3, v75
	v_pk_add_f32 v[26:27], v[28:29], v[26:27]
	v_pk_add_f32 v[12:13], v[14:15], v[12:13]
	;; [unrolled: 1-line block ×3, first 2 shown]
	ds_write2_b64 v158, v[26:27], v[12:13] offset0:54 offset1:60
	ds_write2_b64 v158, v[0:1], v[38:39] offset0:66 offset1:72
.LBB0_11:
	s_or_b64 exec, exec, s[0:1]
	s_waitcnt lgkmcnt(0)
	s_barrier
	ds_read2_b64 v[0:3], v204 offset1:13
	v_mad_u64_u32 v[6:7], s[0:1], s6, v48, 0
	v_mov_b32_e32 v8, v7
	v_mad_u64_u32 v[8:9], s[0:1], s7, v48, v[8:9]
	v_mov_b32_e32 v7, v8
	s_waitcnt lgkmcnt(0)
	v_mul_f32_e32 v8, v61, v1
	v_fmac_f32_e32 v8, v60, v0
	v_mul_f32_e32 v0, v61, v0
	s_mov_b32 s0, 0x1a41a41a
	v_fma_f32 v0, v60, v1, -v0
	v_cvt_f64_f32_e32 v[8:9], v8
	s_mov_b32 s1, 0x3f8a41a4
	v_cvt_f64_f32_e32 v[0:1], v0
	v_mul_f64 v[8:9], v[8:9], s[0:1]
	v_mul_f64 v[0:1], v[0:1], s[0:1]
	v_mov_b32_e32 v4, s2
	v_mov_b32_e32 v5, s3
	v_cvt_f32_f64_e32 v8, v[8:9]
	v_cvt_f32_f64_e32 v9, v[0:1]
	v_mad_u64_u32 v[0:1], s[2:3], s4, v49, 0
	v_mov_b32_e32 v10, v1
	v_mad_u64_u32 v[10:11], s[2:3], s5, v49, v[10:11]
	v_mov_b32_e32 v1, v10
	v_lshl_add_u64 v[4:5], v[6:7], 3, v[4:5]
	v_lshl_add_u64 v[4:5], v[0:1], 3, v[4:5]
	v_mul_f32_e32 v0, v59, v3
	v_fmac_f32_e32 v0, v58, v2
	v_cvt_f64_f32_e32 v[0:1], v0
	v_mul_f64 v[0:1], v[0:1], s[0:1]
	v_cvt_f32_f64_e32 v6, v[0:1]
	v_mul_f32_e32 v0, v59, v2
	v_fma_f32 v0, v58, v3, -v0
	v_cvt_f64_f32_e32 v[0:1], v0
	v_mul_f64 v[0:1], v[0:1], s[0:1]
	v_cvt_f32_f64_e32 v7, v[0:1]
	ds_read2_b64 v[0:3], v204 offset0:26 offset1:39
	global_store_dwordx2 v[4:5], v[8:9], off
	v_mov_b32_e32 v8, 0x68
	v_mad_u64_u32 v[4:5], s[2:3], s4, v8, v[4:5]
	s_mulk_i32 s5, 0x68
	v_add_u32_e32 v5, s5, v5
	global_store_dwordx2 v[4:5], v[6:7], off
	s_waitcnt lgkmcnt(0)
	v_mul_f32_e32 v6, v57, v1
	v_fmac_f32_e32 v6, v56, v0
	v_mul_f32_e32 v0, v57, v0
	v_fma_f32 v0, v56, v1, -v0
	v_cvt_f64_f32_e32 v[6:7], v6
	v_cvt_f64_f32_e32 v[0:1], v0
	v_mul_f64 v[6:7], v[6:7], s[0:1]
	v_mul_f64 v[0:1], v[0:1], s[0:1]
	v_cvt_f32_f64_e32 v6, v[6:7]
	v_cvt_f32_f64_e32 v7, v[0:1]
	v_mul_f32_e32 v0, v55, v3
	v_fmac_f32_e32 v0, v54, v2
	v_mad_u64_u32 v[4:5], s[2:3], s4, v8, v[4:5]
	v_cvt_f64_f32_e32 v[0:1], v0
	v_add_u32_e32 v5, s5, v5
	v_mul_f64 v[0:1], v[0:1], s[0:1]
	global_store_dwordx2 v[4:5], v[6:7], off
	v_cvt_f32_f64_e32 v6, v[0:1]
	v_mul_f32_e32 v0, v55, v2
	v_fma_f32 v0, v54, v3, -v0
	v_cvt_f64_f32_e32 v[0:1], v0
	v_mul_f64 v[0:1], v[0:1], s[0:1]
	v_cvt_f32_f64_e32 v7, v[0:1]
	ds_read2_b64 v[0:3], v204 offset0:52 offset1:65
	v_mad_u64_u32 v[4:5], s[2:3], s4, v8, v[4:5]
	v_add_u32_e32 v5, s5, v5
	global_store_dwordx2 v[4:5], v[6:7], off
	s_waitcnt lgkmcnt(0)
	v_mul_f32_e32 v6, v53, v1
	v_fmac_f32_e32 v6, v52, v0
	v_mul_f32_e32 v0, v53, v0
	v_fma_f32 v0, v52, v1, -v0
	v_cvt_f64_f32_e32 v[6:7], v6
	v_cvt_f64_f32_e32 v[0:1], v0
	v_mul_f64 v[6:7], v[6:7], s[0:1]
	v_mul_f64 v[0:1], v[0:1], s[0:1]
	v_cvt_f32_f64_e32 v6, v[6:7]
	v_cvt_f32_f64_e32 v7, v[0:1]
	v_mad_u64_u32 v[0:1], s[2:3], s4, v8, v[4:5]
	v_mul_f32_e32 v4, v51, v3
	v_fmac_f32_e32 v4, v50, v2
	v_mul_f32_e32 v2, v51, v2
	v_fma_f32 v2, v50, v3, -v2
	v_add_u32_e32 v1, s5, v1
	v_cvt_f64_f32_e32 v[4:5], v4
	v_cvt_f64_f32_e32 v[2:3], v2
	global_store_dwordx2 v[0:1], v[6:7], off
	v_mul_f64 v[4:5], v[4:5], s[0:1]
	v_mul_f64 v[2:3], v[2:3], s[0:1]
	v_mad_u64_u32 v[0:1], s[0:1], s4, v8, v[0:1]
	v_cvt_f32_f64_e32 v4, v[4:5]
	v_cvt_f32_f64_e32 v5, v[2:3]
	v_add_u32_e32 v1, s5, v1
	global_store_dwordx2 v[0:1], v[4:5], off
.LBB0_12:
	s_endpgm
	.section	.rodata,"a",@progbits
	.p2align	6, 0x0
	.amdhsa_kernel bluestein_single_fwd_len78_dim1_sp_op_CI_CI
		.amdhsa_group_segment_fixed_size 11856
		.amdhsa_private_segment_fixed_size 0
		.amdhsa_kernarg_size 104
		.amdhsa_user_sgpr_count 2
		.amdhsa_user_sgpr_dispatch_ptr 0
		.amdhsa_user_sgpr_queue_ptr 0
		.amdhsa_user_sgpr_kernarg_segment_ptr 1
		.amdhsa_user_sgpr_dispatch_id 0
		.amdhsa_user_sgpr_kernarg_preload_length 0
		.amdhsa_user_sgpr_kernarg_preload_offset 0
		.amdhsa_user_sgpr_private_segment_size 0
		.amdhsa_uses_dynamic_stack 0
		.amdhsa_enable_private_segment 0
		.amdhsa_system_sgpr_workgroup_id_x 1
		.amdhsa_system_sgpr_workgroup_id_y 0
		.amdhsa_system_sgpr_workgroup_id_z 0
		.amdhsa_system_sgpr_workgroup_info 0
		.amdhsa_system_vgpr_workitem_id 0
		.amdhsa_next_free_vgpr 224
		.amdhsa_next_free_sgpr 46
		.amdhsa_accum_offset 224
		.amdhsa_reserve_vcc 1
		.amdhsa_float_round_mode_32 0
		.amdhsa_float_round_mode_16_64 0
		.amdhsa_float_denorm_mode_32 3
		.amdhsa_float_denorm_mode_16_64 3
		.amdhsa_dx10_clamp 1
		.amdhsa_ieee_mode 1
		.amdhsa_fp16_overflow 0
		.amdhsa_tg_split 0
		.amdhsa_exception_fp_ieee_invalid_op 0
		.amdhsa_exception_fp_denorm_src 0
		.amdhsa_exception_fp_ieee_div_zero 0
		.amdhsa_exception_fp_ieee_overflow 0
		.amdhsa_exception_fp_ieee_underflow 0
		.amdhsa_exception_fp_ieee_inexact 0
		.amdhsa_exception_int_div_zero 0
	.end_amdhsa_kernel
	.text
.Lfunc_end0:
	.size	bluestein_single_fwd_len78_dim1_sp_op_CI_CI, .Lfunc_end0-bluestein_single_fwd_len78_dim1_sp_op_CI_CI
                                        ; -- End function
	.section	.AMDGPU.csdata,"",@progbits
; Kernel info:
; codeLenInByte = 8304
; NumSgprs: 52
; NumVgprs: 224
; NumAgprs: 0
; TotalNumVgprs: 224
; ScratchSize: 0
; MemoryBound: 0
; FloatMode: 240
; IeeeMode: 1
; LDSByteSize: 11856 bytes/workgroup (compile time only)
; SGPRBlocks: 6
; VGPRBlocks: 27
; NumSGPRsForWavesPerEU: 52
; NumVGPRsForWavesPerEU: 224
; AccumOffset: 224
; Occupancy: 2
; WaveLimiterHint : 1
; COMPUTE_PGM_RSRC2:SCRATCH_EN: 0
; COMPUTE_PGM_RSRC2:USER_SGPR: 2
; COMPUTE_PGM_RSRC2:TRAP_HANDLER: 0
; COMPUTE_PGM_RSRC2:TGID_X_EN: 1
; COMPUTE_PGM_RSRC2:TGID_Y_EN: 0
; COMPUTE_PGM_RSRC2:TGID_Z_EN: 0
; COMPUTE_PGM_RSRC2:TIDIG_COMP_CNT: 0
; COMPUTE_PGM_RSRC3_GFX90A:ACCUM_OFFSET: 55
; COMPUTE_PGM_RSRC3_GFX90A:TG_SPLIT: 0
	.text
	.p2alignl 6, 3212836864
	.fill 256, 4, 3212836864
	.type	__hip_cuid_44528c9f351230ae,@object ; @__hip_cuid_44528c9f351230ae
	.section	.bss,"aw",@nobits
	.globl	__hip_cuid_44528c9f351230ae
__hip_cuid_44528c9f351230ae:
	.byte	0                               ; 0x0
	.size	__hip_cuid_44528c9f351230ae, 1

	.ident	"AMD clang version 19.0.0git (https://github.com/RadeonOpenCompute/llvm-project roc-6.4.0 25133 c7fe45cf4b819c5991fe208aaa96edf142730f1d)"
	.section	".note.GNU-stack","",@progbits
	.addrsig
	.addrsig_sym __hip_cuid_44528c9f351230ae
	.amdgpu_metadata
---
amdhsa.kernels:
  - .agpr_count:     0
    .args:
      - .actual_access:  read_only
        .address_space:  global
        .offset:         0
        .size:           8
        .value_kind:     global_buffer
      - .actual_access:  read_only
        .address_space:  global
        .offset:         8
        .size:           8
        .value_kind:     global_buffer
      - .actual_access:  read_only
        .address_space:  global
        .offset:         16
        .size:           8
        .value_kind:     global_buffer
      - .actual_access:  read_only
        .address_space:  global
        .offset:         24
        .size:           8
        .value_kind:     global_buffer
      - .actual_access:  read_only
        .address_space:  global
        .offset:         32
        .size:           8
        .value_kind:     global_buffer
      - .offset:         40
        .size:           8
        .value_kind:     by_value
      - .address_space:  global
        .offset:         48
        .size:           8
        .value_kind:     global_buffer
      - .address_space:  global
        .offset:         56
        .size:           8
        .value_kind:     global_buffer
      - .address_space:  global
        .offset:         64
        .size:           8
        .value_kind:     global_buffer
      - .address_space:  global
        .offset:         72
        .size:           8
        .value_kind:     global_buffer
      - .offset:         80
        .size:           4
        .value_kind:     by_value
      - .address_space:  global
        .offset:         88
        .size:           8
        .value_kind:     global_buffer
      - .address_space:  global
        .offset:         96
        .size:           8
        .value_kind:     global_buffer
    .group_segment_fixed_size: 11856
    .kernarg_segment_align: 8
    .kernarg_segment_size: 104
    .language:       OpenCL C
    .language_version:
      - 2
      - 0
    .max_flat_workgroup_size: 247
    .name:           bluestein_single_fwd_len78_dim1_sp_op_CI_CI
    .private_segment_fixed_size: 0
    .sgpr_count:     52
    .sgpr_spill_count: 0
    .symbol:         bluestein_single_fwd_len78_dim1_sp_op_CI_CI.kd
    .uniform_work_group_size: 1
    .uses_dynamic_stack: false
    .vgpr_count:     224
    .vgpr_spill_count: 0
    .wavefront_size: 64
amdhsa.target:   amdgcn-amd-amdhsa--gfx950
amdhsa.version:
  - 1
  - 2
...

	.end_amdgpu_metadata
